;; amdgpu-corpus repo=ROCm/rocFFT kind=compiled arch=gfx1030 opt=O3
	.text
	.amdgcn_target "amdgcn-amd-amdhsa--gfx1030"
	.amdhsa_code_object_version 6
	.protected	fft_rtc_back_len1170_factors_2_13_3_5_3_wgs_117_tpt_117_dp_ip_CI_unitstride_sbrr_C2R_dirReg ; -- Begin function fft_rtc_back_len1170_factors_2_13_3_5_3_wgs_117_tpt_117_dp_ip_CI_unitstride_sbrr_C2R_dirReg
	.globl	fft_rtc_back_len1170_factors_2_13_3_5_3_wgs_117_tpt_117_dp_ip_CI_unitstride_sbrr_C2R_dirReg
	.p2align	8
	.type	fft_rtc_back_len1170_factors_2_13_3_5_3_wgs_117_tpt_117_dp_ip_CI_unitstride_sbrr_C2R_dirReg,@function
fft_rtc_back_len1170_factors_2_13_3_5_3_wgs_117_tpt_117_dp_ip_CI_unitstride_sbrr_C2R_dirReg: ; @fft_rtc_back_len1170_factors_2_13_3_5_3_wgs_117_tpt_117_dp_ip_CI_unitstride_sbrr_C2R_dirReg
; %bb.0:
	s_clause 0x2
	s_load_dwordx4 s[8:11], s[4:5], 0x0
	s_load_dwordx2 s[2:3], s[4:5], 0x50
	s_load_dwordx2 s[12:13], s[4:5], 0x18
	v_mul_u32_u24_e32 v1, 0x231, v0
	v_mov_b32_e32 v3, 0
	v_add_nc_u32_sdwa v5, s6, v1 dst_sel:DWORD dst_unused:UNUSED_PAD src0_sel:DWORD src1_sel:WORD_1
	v_mov_b32_e32 v1, 0
	v_mov_b32_e32 v6, v3
	v_mov_b32_e32 v2, 0
	s_waitcnt lgkmcnt(0)
	v_cmp_lt_u64_e64 s0, s[10:11], 2
	s_and_b32 vcc_lo, exec_lo, s0
	s_cbranch_vccnz .LBB0_8
; %bb.1:
	s_load_dwordx2 s[0:1], s[4:5], 0x10
	v_mov_b32_e32 v1, 0
	s_add_u32 s6, s12, 8
	v_mov_b32_e32 v2, 0
	s_addc_u32 s7, s13, 0
	s_mov_b64 s[16:17], 1
	s_waitcnt lgkmcnt(0)
	s_add_u32 s14, s0, 8
	s_addc_u32 s15, s1, 0
.LBB0_2:                                ; =>This Inner Loop Header: Depth=1
	s_load_dwordx2 s[18:19], s[14:15], 0x0
                                        ; implicit-def: $vgpr7_vgpr8
	s_mov_b32 s0, exec_lo
	s_waitcnt lgkmcnt(0)
	v_or_b32_e32 v4, s19, v6
	v_cmpx_ne_u64_e32 0, v[3:4]
	s_xor_b32 s1, exec_lo, s0
	s_cbranch_execz .LBB0_4
; %bb.3:                                ;   in Loop: Header=BB0_2 Depth=1
	v_cvt_f32_u32_e32 v4, s18
	v_cvt_f32_u32_e32 v7, s19
	s_sub_u32 s0, 0, s18
	s_subb_u32 s20, 0, s19
	v_fmac_f32_e32 v4, 0x4f800000, v7
	v_rcp_f32_e32 v4, v4
	v_mul_f32_e32 v4, 0x5f7ffffc, v4
	v_mul_f32_e32 v7, 0x2f800000, v4
	v_trunc_f32_e32 v7, v7
	v_fmac_f32_e32 v4, 0xcf800000, v7
	v_cvt_u32_f32_e32 v7, v7
	v_cvt_u32_f32_e32 v4, v4
	v_mul_lo_u32 v8, s0, v7
	v_mul_hi_u32 v9, s0, v4
	v_mul_lo_u32 v10, s20, v4
	v_add_nc_u32_e32 v8, v9, v8
	v_mul_lo_u32 v9, s0, v4
	v_add_nc_u32_e32 v8, v8, v10
	v_mul_hi_u32 v10, v4, v9
	v_mul_lo_u32 v11, v4, v8
	v_mul_hi_u32 v12, v4, v8
	v_mul_hi_u32 v13, v7, v9
	v_mul_lo_u32 v9, v7, v9
	v_mul_hi_u32 v14, v7, v8
	v_mul_lo_u32 v8, v7, v8
	v_add_co_u32 v10, vcc_lo, v10, v11
	v_add_co_ci_u32_e32 v11, vcc_lo, 0, v12, vcc_lo
	v_add_co_u32 v9, vcc_lo, v10, v9
	v_add_co_ci_u32_e32 v9, vcc_lo, v11, v13, vcc_lo
	v_add_co_ci_u32_e32 v10, vcc_lo, 0, v14, vcc_lo
	v_add_co_u32 v8, vcc_lo, v9, v8
	v_add_co_ci_u32_e32 v9, vcc_lo, 0, v10, vcc_lo
	v_add_co_u32 v4, vcc_lo, v4, v8
	v_add_co_ci_u32_e32 v7, vcc_lo, v7, v9, vcc_lo
	v_mul_hi_u32 v8, s0, v4
	v_mul_lo_u32 v10, s20, v4
	v_mul_lo_u32 v9, s0, v7
	v_add_nc_u32_e32 v8, v8, v9
	v_mul_lo_u32 v9, s0, v4
	v_add_nc_u32_e32 v8, v8, v10
	v_mul_hi_u32 v10, v4, v9
	v_mul_lo_u32 v11, v4, v8
	v_mul_hi_u32 v12, v4, v8
	v_mul_hi_u32 v13, v7, v9
	v_mul_lo_u32 v9, v7, v9
	v_mul_hi_u32 v14, v7, v8
	v_mul_lo_u32 v8, v7, v8
	v_add_co_u32 v10, vcc_lo, v10, v11
	v_add_co_ci_u32_e32 v11, vcc_lo, 0, v12, vcc_lo
	v_add_co_u32 v9, vcc_lo, v10, v9
	v_add_co_ci_u32_e32 v9, vcc_lo, v11, v13, vcc_lo
	v_add_co_ci_u32_e32 v10, vcc_lo, 0, v14, vcc_lo
	v_add_co_u32 v8, vcc_lo, v9, v8
	v_add_co_ci_u32_e32 v9, vcc_lo, 0, v10, vcc_lo
	v_add_co_u32 v4, vcc_lo, v4, v8
	v_add_co_ci_u32_e32 v11, vcc_lo, v7, v9, vcc_lo
	v_mul_hi_u32 v13, v5, v4
	v_mad_u64_u32 v[9:10], null, v6, v4, 0
	v_mad_u64_u32 v[7:8], null, v5, v11, 0
	;; [unrolled: 1-line block ×3, first 2 shown]
	v_add_co_u32 v4, vcc_lo, v13, v7
	v_add_co_ci_u32_e32 v7, vcc_lo, 0, v8, vcc_lo
	v_add_co_u32 v4, vcc_lo, v4, v9
	v_add_co_ci_u32_e32 v4, vcc_lo, v7, v10, vcc_lo
	v_add_co_ci_u32_e32 v7, vcc_lo, 0, v12, vcc_lo
	v_add_co_u32 v4, vcc_lo, v4, v11
	v_add_co_ci_u32_e32 v9, vcc_lo, 0, v7, vcc_lo
	v_mul_lo_u32 v10, s19, v4
	v_mad_u64_u32 v[7:8], null, s18, v4, 0
	v_mul_lo_u32 v11, s18, v9
	v_sub_co_u32 v7, vcc_lo, v5, v7
	v_add3_u32 v8, v8, v11, v10
	v_sub_nc_u32_e32 v10, v6, v8
	v_subrev_co_ci_u32_e64 v10, s0, s19, v10, vcc_lo
	v_add_co_u32 v11, s0, v4, 2
	v_add_co_ci_u32_e64 v12, s0, 0, v9, s0
	v_sub_co_u32 v13, s0, v7, s18
	v_sub_co_ci_u32_e32 v8, vcc_lo, v6, v8, vcc_lo
	v_subrev_co_ci_u32_e64 v10, s0, 0, v10, s0
	v_cmp_le_u32_e32 vcc_lo, s18, v13
	v_cmp_eq_u32_e64 s0, s19, v8
	v_cndmask_b32_e64 v13, 0, -1, vcc_lo
	v_cmp_le_u32_e32 vcc_lo, s19, v10
	v_cndmask_b32_e64 v14, 0, -1, vcc_lo
	v_cmp_le_u32_e32 vcc_lo, s18, v7
	;; [unrolled: 2-line block ×3, first 2 shown]
	v_cndmask_b32_e64 v15, 0, -1, vcc_lo
	v_cmp_eq_u32_e32 vcc_lo, s19, v10
	v_cndmask_b32_e64 v7, v15, v7, s0
	v_cndmask_b32_e32 v10, v14, v13, vcc_lo
	v_add_co_u32 v13, vcc_lo, v4, 1
	v_add_co_ci_u32_e32 v14, vcc_lo, 0, v9, vcc_lo
	v_cmp_ne_u32_e32 vcc_lo, 0, v10
	v_cndmask_b32_e32 v8, v14, v12, vcc_lo
	v_cndmask_b32_e32 v10, v13, v11, vcc_lo
	v_cmp_ne_u32_e32 vcc_lo, 0, v7
	v_cndmask_b32_e32 v8, v9, v8, vcc_lo
	v_cndmask_b32_e32 v7, v4, v10, vcc_lo
.LBB0_4:                                ;   in Loop: Header=BB0_2 Depth=1
	s_andn2_saveexec_b32 s0, s1
	s_cbranch_execz .LBB0_6
; %bb.5:                                ;   in Loop: Header=BB0_2 Depth=1
	v_cvt_f32_u32_e32 v4, s18
	s_sub_i32 s1, 0, s18
	v_rcp_iflag_f32_e32 v4, v4
	v_mul_f32_e32 v4, 0x4f7ffffe, v4
	v_cvt_u32_f32_e32 v4, v4
	v_mul_lo_u32 v7, s1, v4
	v_mul_hi_u32 v7, v4, v7
	v_add_nc_u32_e32 v4, v4, v7
	v_mul_hi_u32 v4, v5, v4
	v_mul_lo_u32 v7, v4, s18
	v_add_nc_u32_e32 v8, 1, v4
	v_sub_nc_u32_e32 v7, v5, v7
	v_subrev_nc_u32_e32 v9, s18, v7
	v_cmp_le_u32_e32 vcc_lo, s18, v7
	v_cndmask_b32_e32 v7, v7, v9, vcc_lo
	v_cndmask_b32_e32 v4, v4, v8, vcc_lo
	v_cmp_le_u32_e32 vcc_lo, s18, v7
	v_add_nc_u32_e32 v8, 1, v4
	v_cndmask_b32_e32 v7, v4, v8, vcc_lo
	v_mov_b32_e32 v8, v3
.LBB0_6:                                ;   in Loop: Header=BB0_2 Depth=1
	s_or_b32 exec_lo, exec_lo, s0
	s_load_dwordx2 s[0:1], s[6:7], 0x0
	v_mul_lo_u32 v4, v8, s18
	v_mul_lo_u32 v11, v7, s19
	v_mad_u64_u32 v[9:10], null, v7, s18, 0
	s_add_u32 s16, s16, 1
	s_addc_u32 s17, s17, 0
	s_add_u32 s6, s6, 8
	s_addc_u32 s7, s7, 0
	;; [unrolled: 2-line block ×3, first 2 shown]
	v_add3_u32 v4, v10, v11, v4
	v_sub_co_u32 v5, vcc_lo, v5, v9
	v_sub_co_ci_u32_e32 v4, vcc_lo, v6, v4, vcc_lo
	s_waitcnt lgkmcnt(0)
	v_mul_lo_u32 v6, s1, v5
	v_mul_lo_u32 v4, s0, v4
	v_mad_u64_u32 v[1:2], null, s0, v5, v[1:2]
	v_cmp_ge_u64_e64 s0, s[16:17], s[10:11]
	s_and_b32 vcc_lo, exec_lo, s0
	v_add3_u32 v2, v6, v2, v4
	s_cbranch_vccnz .LBB0_9
; %bb.7:                                ;   in Loop: Header=BB0_2 Depth=1
	v_mov_b32_e32 v5, v7
	v_mov_b32_e32 v6, v8
	s_branch .LBB0_2
.LBB0_8:
	v_mov_b32_e32 v8, v6
	v_mov_b32_e32 v7, v5
.LBB0_9:
	s_lshl_b64 s[0:1], s[10:11], 3
	v_mul_hi_u32 v5, 0x2302303, v0
	s_add_u32 s0, s12, s0
	s_addc_u32 s1, s13, s1
	s_load_dwordx2 s[0:1], s[0:1], 0x0
	s_load_dwordx2 s[4:5], s[4:5], 0x20
	s_waitcnt lgkmcnt(0)
	v_mul_lo_u32 v3, s0, v8
	v_mul_lo_u32 v4, s1, v7
	v_mad_u64_u32 v[1:2], null, s0, v7, v[1:2]
	v_cmp_gt_u64_e32 vcc_lo, s[4:5], v[7:8]
	v_add3_u32 v2, v4, v2, v3
	v_mul_u32_u24_e32 v3, 0x75, v5
	v_lshlrev_b64 v[54:55], 4, v[1:2]
	v_sub_nc_u32_e32 v52, v0, v3
	s_and_saveexec_b32 s1, vcc_lo
	s_cbranch_execz .LBB0_13
; %bb.10:
	v_mov_b32_e32 v53, 0
	v_add_co_u32 v0, s0, s2, v54
	v_add_co_ci_u32_e64 v1, s0, s3, v55, s0
	v_lshlrev_b64 v[2:3], 4, v[52:53]
	v_lshl_add_u32 v42, v52, 4, 0
	s_mov_b32 s4, exec_lo
	v_add_co_u32 v18, s0, v0, v2
	v_add_co_ci_u32_e64 v19, s0, v1, v3, s0
	v_add_co_u32 v10, s0, 0x800, v18
	v_add_co_ci_u32_e64 v11, s0, 0, v19, s0
	;; [unrolled: 2-line block ×9, first 2 shown]
	s_clause 0x9
	global_load_dwordx4 v[2:5], v[18:19], off
	global_load_dwordx4 v[6:9], v[18:19], off offset:1872
	global_load_dwordx4 v[10:13], v[10:11], off offset:1696
	;; [unrolled: 1-line block ×9, first 2 shown]
	s_waitcnt vmcnt(9)
	ds_write_b128 v42, v[2:5]
	s_waitcnt vmcnt(8)
	ds_write_b128 v42, v[6:9] offset:1872
	s_waitcnt vmcnt(7)
	ds_write_b128 v42, v[10:13] offset:3744
	;; [unrolled: 2-line block ×9, first 2 shown]
	v_cmpx_eq_u32_e32 0x74, v52
	s_cbranch_execz .LBB0_12
; %bb.11:
	v_add_co_u32 v0, s0, 0x4800, v0
	v_add_co_ci_u32_e64 v1, s0, 0, v1, s0
	v_mov_b32_e32 v52, 0x74
	global_load_dwordx4 v[0:3], v[0:1], off offset:288
	s_waitcnt vmcnt(0)
	ds_write_b128 v53, v[0:3] offset:18720
.LBB0_12:
	s_or_b32 exec_lo, exec_lo, s4
.LBB0_13:
	s_or_b32 exec_lo, exec_lo, s1
	v_lshlrev_b32_e32 v0, 4, v52
	s_waitcnt lgkmcnt(0)
	s_barrier
	buffer_gl0_inv
	s_add_u32 s1, s8, 0x4900
	v_add_nc_u32_e32 v188, 0, v0
	v_sub_nc_u32_e32 v10, 0, v0
	s_addc_u32 s4, s9, 0
	s_mov_b32 s5, exec_lo
                                        ; implicit-def: $vgpr4_vgpr5
	ds_read_b64 v[6:7], v188
	ds_read_b64 v[8:9], v10 offset:18720
	s_waitcnt lgkmcnt(0)
	v_add_f64 v[0:1], v[6:7], v[8:9]
	v_add_f64 v[2:3], v[6:7], -v[8:9]
	v_cmpx_ne_u32_e32 0, v52
	s_xor_b32 s5, exec_lo, s5
	s_cbranch_execz .LBB0_15
; %bb.14:
	v_mov_b32_e32 v53, 0
	v_add_f64 v[13:14], v[6:7], v[8:9]
	v_add_f64 v[15:16], v[6:7], -v[8:9]
	v_lshlrev_b64 v[0:1], 4, v[52:53]
	v_add_co_u32 v0, s0, s1, v0
	v_add_co_ci_u32_e64 v1, s0, s4, v1, s0
	global_load_dwordx4 v[2:5], v[0:1], off
	ds_read_b64 v[0:1], v10 offset:18728
	ds_read_b64 v[11:12], v188 offset:8
	s_waitcnt lgkmcnt(0)
	v_add_f64 v[6:7], v[0:1], v[11:12]
	v_add_f64 v[0:1], v[11:12], -v[0:1]
	s_waitcnt vmcnt(0)
	v_fma_f64 v[8:9], v[15:16], v[4:5], v[13:14]
	v_fma_f64 v[11:12], -v[15:16], v[4:5], v[13:14]
	v_fma_f64 v[13:14], v[6:7], v[4:5], -v[0:1]
	v_fma_f64 v[4:5], v[6:7], v[4:5], v[0:1]
	v_fma_f64 v[0:1], -v[6:7], v[2:3], v[8:9]
	v_fma_f64 v[6:7], v[6:7], v[2:3], v[11:12]
	v_fma_f64 v[8:9], v[15:16], v[2:3], v[13:14]
	;; [unrolled: 1-line block ×3, first 2 shown]
	v_mov_b32_e32 v4, v52
	v_mov_b32_e32 v5, v53
	ds_write_b128 v10, v[6:9] offset:18720
.LBB0_15:
	s_andn2_saveexec_b32 s0, s5
	s_cbranch_execz .LBB0_17
; %bb.16:
	v_mov_b32_e32 v8, 0
	ds_read_b128 v[4:7], v8 offset:9360
	s_waitcnt lgkmcnt(0)
	v_add_f64 v[11:12], v[4:5], v[4:5]
	v_mul_f64 v[13:14], v[6:7], -2.0
	v_mov_b32_e32 v4, 0
	v_mov_b32_e32 v5, 0
	ds_write_b128 v8, v[11:14] offset:9360
.LBB0_17:
	s_or_b32 exec_lo, exec_lo, s0
	v_lshlrev_b64 v[4:5], 4, v[4:5]
	ds_write_b128 v188, v[0:3]
	v_add_nc_u32_e32 v53, 0x15f, v52
	v_add_nc_u32_e32 v189, 0x75, v52
	;; [unrolled: 1-line block ×3, first 2 shown]
                                        ; implicit-def: $vgpr50_vgpr51
                                        ; implicit-def: $vgpr46_vgpr47
	v_add_co_u32 v8, s0, s1, v4
	v_add_co_ci_u32_e64 v9, s0, s4, v5, s0
	v_lshl_add_u32 v44, v53, 5, 0
	v_add_co_u32 v11, s0, 0x800, v8
	global_load_dwordx4 v[4:7], v[8:9], off offset:1872
	v_add_co_ci_u32_e64 v12, s0, 0, v9, s0
	v_add_co_u32 v15, s0, 0x1000, v8
	v_add_co_ci_u32_e64 v16, s0, 0, v9, s0
	global_load_dwordx4 v[11:14], v[11:12], off offset:1696
	v_add_co_u32 v8, s0, 0x1800, v8
	global_load_dwordx4 v[15:18], v[15:16], off offset:1520
	v_add_co_ci_u32_e64 v9, s0, 0, v9, s0
	ds_read_b128 v[0:3], v188 offset:1872
	ds_read_b128 v[19:22], v10 offset:16848
	v_cmp_gt_u32_e64 s0, 0x5a, v52
	global_load_dwordx4 v[23:26], v[8:9], off offset:1344
	s_waitcnt lgkmcnt(0)
	v_add_f64 v[8:9], v[0:1], v[19:20]
	v_add_f64 v[27:28], v[21:22], v[2:3]
	v_add_f64 v[19:20], v[0:1], -v[19:20]
	v_add_f64 v[0:1], v[2:3], -v[21:22]
	s_waitcnt vmcnt(3)
	v_fma_f64 v[2:3], v[19:20], v[6:7], v[8:9]
	v_fma_f64 v[21:22], v[27:28], v[6:7], v[0:1]
	v_fma_f64 v[8:9], -v[19:20], v[6:7], v[8:9]
	v_fma_f64 v[29:30], v[27:28], v[6:7], -v[0:1]
	v_fma_f64 v[0:1], -v[27:28], v[4:5], v[2:3]
	v_fma_f64 v[2:3], v[19:20], v[4:5], v[21:22]
	v_fma_f64 v[6:7], v[27:28], v[4:5], v[8:9]
	v_fma_f64 v[8:9], v[19:20], v[4:5], v[29:30]
	ds_write_b128 v188, v[0:3] offset:1872
	ds_write_b128 v10, v[6:9] offset:16848
	ds_read_b128 v[0:3], v188 offset:3744
	ds_read_b128 v[4:7], v10 offset:14976
	s_waitcnt lgkmcnt(0)
	v_add_f64 v[8:9], v[0:1], v[4:5]
	v_add_f64 v[19:20], v[6:7], v[2:3]
	v_add_f64 v[21:22], v[0:1], -v[4:5]
	v_add_f64 v[0:1], v[2:3], -v[6:7]
	s_waitcnt vmcnt(2)
	v_fma_f64 v[2:3], v[21:22], v[13:14], v[8:9]
	v_fma_f64 v[4:5], v[19:20], v[13:14], v[0:1]
	v_fma_f64 v[6:7], -v[21:22], v[13:14], v[8:9]
	v_fma_f64 v[8:9], v[19:20], v[13:14], -v[0:1]
	v_fma_f64 v[0:1], -v[19:20], v[11:12], v[2:3]
	v_fma_f64 v[2:3], v[21:22], v[11:12], v[4:5]
	v_fma_f64 v[4:5], v[19:20], v[11:12], v[6:7]
	v_fma_f64 v[6:7], v[21:22], v[11:12], v[8:9]
	ds_write_b128 v188, v[0:3] offset:3744
	ds_write_b128 v10, v[4:7] offset:14976
	ds_read_b128 v[0:3], v188 offset:5616
	ds_read_b128 v[4:7], v10 offset:13104
	;; [unrolled: 18-line block ×3, first 2 shown]
	s_waitcnt lgkmcnt(0)
	v_add_f64 v[8:9], v[0:1], v[4:5]
	v_add_f64 v[11:12], v[6:7], v[2:3]
	v_add_f64 v[13:14], v[0:1], -v[4:5]
	v_add_f64 v[0:1], v[2:3], -v[6:7]
	s_waitcnt vmcnt(0)
	v_fma_f64 v[2:3], v[13:14], v[25:26], v[8:9]
	v_fma_f64 v[4:5], v[11:12], v[25:26], v[0:1]
	v_fma_f64 v[6:7], -v[13:14], v[25:26], v[8:9]
	v_fma_f64 v[8:9], v[11:12], v[25:26], -v[0:1]
	v_fma_f64 v[0:1], -v[11:12], v[23:24], v[2:3]
	v_fma_f64 v[2:3], v[13:14], v[23:24], v[4:5]
	v_fma_f64 v[4:5], v[11:12], v[23:24], v[6:7]
	;; [unrolled: 1-line block ×3, first 2 shown]
	ds_write_b128 v188, v[0:3] offset:7488
	ds_write_b128 v10, v[4:7] offset:11232
	s_waitcnt lgkmcnt(0)
	s_barrier
	buffer_gl0_inv
	s_barrier
	buffer_gl0_inv
	ds_read_b128 v[0:3], v188 offset:9360
	ds_read_b128 v[16:19], v188
	ds_read_b128 v[24:27], v188 offset:1872
	ds_read_b128 v[8:11], v188 offset:11232
	;; [unrolled: 1-line block ×8, first 2 shown]
	s_waitcnt lgkmcnt(0)
	s_barrier
	buffer_gl0_inv
	v_add_f64 v[4:5], v[16:17], -v[0:1]
	v_add_f64 v[6:7], v[18:19], -v[2:3]
	;; [unrolled: 1-line block ×10, first 2 shown]
	v_fma_f64 v[0:1], v[16:17], 2.0, -v[4:5]
	v_fma_f64 v[2:3], v[18:19], 2.0, -v[6:7]
	;; [unrolled: 1-line block ×10, first 2 shown]
	v_lshl_add_u32 v40, v52, 4, v188
	v_lshl_add_u32 v41, v52, 5, 0
	;; [unrolled: 1-line block ×4, first 2 shown]
	ds_write_b128 v40, v[4:7] offset:16
	ds_write_b128 v42, v[8:11] offset:16
	;; [unrolled: 1-line block ×5, first 2 shown]
	ds_write_b128 v40, v[0:3]
	ds_write_b128 v42, v[16:19]
	;; [unrolled: 1-line block ×4, first 2 shown]
	ds_write_b128 v41, v[36:39] offset:14976
	s_waitcnt lgkmcnt(0)
	s_barrier
	buffer_gl0_inv
                                        ; implicit-def: $vgpr42_vgpr43
	s_and_saveexec_b32 s1, s0
	s_cbranch_execz .LBB0_19
; %bb.18:
	ds_read_b128 v[0:3], v188
	ds_read_b128 v[4:7], v188 offset:1440
	ds_read_b128 v[16:19], v188 offset:2880
	;; [unrolled: 1-line block ×12, first 2 shown]
.LBB0_19:
	s_or_b32 exec_lo, exec_lo, s1
	v_and_b32_e32 v191, 1, v52
	s_mov_b32 s4, 0x1ea71119
	s_mov_b32 s10, 0x42a4c3d2
	;; [unrolled: 1-line block ×4, first 2 shown]
	v_mul_u32_u24_e32 v56, 12, v191
	s_mov_b32 s18, 0xebaa3ed8
	s_mov_b32 s28, 0x66966769
	;; [unrolled: 1-line block ×4, first 2 shown]
	v_lshlrev_b32_e32 v56, 4, v56
	s_mov_b32 s7, 0xbfd6b1d8
	s_mov_b32 s15, 0xbfedeba7
	;; [unrolled: 1-line block ×4, first 2 shown]
	s_clause 0xb
	global_load_dwordx4 v[58:61], v56, s[8:9]
	global_load_dwordx4 v[62:65], v56, s[8:9] offset:176
	global_load_dwordx4 v[66:69], v56, s[8:9] offset:16
	;; [unrolled: 1-line block ×11, first 2 shown]
	s_mov_b32 s12, 0x93053d00
	s_mov_b32 s24, 0x4bc48dbf
	;; [unrolled: 1-line block ×22, first 2 shown]
	s_waitcnt vmcnt(0) lgkmcnt(0)
	s_barrier
	buffer_gl0_inv
	v_mul_f64 v[56:57], v[4:5], v[60:61]
	v_mul_f64 v[70:71], v[48:49], v[64:65]
	;; [unrolled: 1-line block ×13, first 2 shown]
	v_fma_f64 v[164:165], v[6:7], v[58:59], -v[56:57]
	v_fma_f64 v[50:51], v[50:51], v[62:63], -v[70:71]
	v_mul_f64 v[6:7], v[18:19], v[68:69]
	v_mul_f64 v[68:69], v[10:11], v[78:79]
	v_mul_f64 v[70:71], v[8:9], v[78:79]
	v_mul_f64 v[78:79], v[26:27], v[82:83]
	v_mul_f64 v[82:83], v[24:25], v[82:83]
	v_fma_f64 v[56:57], v[18:19], v[66:67], -v[108:109]
	v_fma_f64 v[46:47], v[46:47], v[72:73], -v[110:111]
	v_fma_f64 v[166:167], v[4:5], v[58:59], v[60:61]
	v_fma_f64 v[48:49], v[48:49], v[62:63], v[64:65]
	v_mul_f64 v[18:19], v[22:23], v[98:99]
	v_mul_f64 v[4:5], v[38:39], v[102:103]
	;; [unrolled: 1-line block ×4, first 2 shown]
	v_fma_f64 v[42:43], v[42:43], v[88:89], -v[114:115]
	v_fma_f64 v[44:45], v[44:45], v[72:73], v[118:119]
	v_mul_f64 v[98:99], v[20:21], v[98:99]
	v_mul_f64 v[60:61], v[34:35], v[106:107]
	v_fma_f64 v[72:73], v[28:29], v[92:93], v[116:117]
	v_add_f64 v[168:169], v[164:165], -v[50:51]
	v_add_f64 v[170:171], v[164:165], v[50:51]
	v_fma_f64 v[66:67], v[16:17], v[66:67], v[6:7]
	v_fma_f64 v[70:71], v[10:11], v[76:77], -v[70:71]
	v_fma_f64 v[62:63], v[8:9], v[76:77], v[68:69]
	v_fma_f64 v[74:75], v[26:27], v[80:81], -v[82:83]
	v_fma_f64 v[64:65], v[24:25], v[80:81], v[78:79]
	v_add_f64 v[26:27], v[56:57], -v[46:47]
	v_add_f64 v[16:17], v[56:57], v[46:47]
	v_add_f64 v[172:173], v[166:167], v[48:49]
	v_add_f64 v[174:175], v[166:167], -v[48:49]
	v_fma_f64 v[68:69], v[12:13], v[84:85], v[112:113]
	v_fma_f64 v[76:77], v[14:15], v[84:85], -v[86:87]
	v_fma_f64 v[80:81], v[30:31], v[92:93], -v[94:95]
	v_fma_f64 v[78:79], v[20:21], v[96:97], v[18:19]
	v_fma_f64 v[82:83], v[40:41], v[88:89], v[90:91]
	v_fma_f64 v[88:89], v[34:35], v[104:105], -v[102:103]
	v_fma_f64 v[92:93], v[36:37], v[100:101], v[4:5]
	v_fma_f64 v[94:95], v[22:23], v[96:97], -v[98:99]
	v_fma_f64 v[98:99], v[38:39], v[100:101], -v[58:59]
	v_fma_f64 v[96:97], v[32:33], v[104:105], v[60:61]
	v_mul_f64 v[180:181], v[168:169], s[10:11]
	v_mul_f64 v[182:183], v[170:171], s[4:5]
	;; [unrolled: 1-line block ×6, first 2 shown]
	v_add_f64 v[34:35], v[70:71], -v[42:43]
	v_add_f64 v[18:19], v[70:71], v[42:43]
	v_add_f64 v[20:21], v[66:67], v[44:45]
	v_add_f64 v[40:41], v[66:67], -v[44:45]
	v_mul_f64 v[142:143], v[26:27], s[14:15]
	v_mul_f64 v[146:147], v[16:17], s[6:7]
	;; [unrolled: 1-line block ×6, first 2 shown]
	v_add_f64 v[22:23], v[62:63], v[82:83]
	v_add_f64 v[58:59], v[62:63], -v[82:83]
	v_add_f64 v[38:39], v[74:75], -v[88:89]
	v_add_f64 v[24:25], v[74:75], v[88:89]
	v_add_f64 v[28:29], v[64:65], v[96:97]
	v_add_f64 v[86:87], v[64:65], -v[96:97]
	v_fma_f64 v[4:5], v[172:173], s[4:5], -v[180:181]
	v_fma_f64 v[6:7], v[174:175], s[10:11], v[182:183]
	v_fma_f64 v[8:9], v[172:173], s[18:19], -v[176:177]
	v_fma_f64 v[10:11], v[174:175], s[28:29], v[184:185]
	;; [unrolled: 2-line block ×3, first 2 shown]
	v_mul_f64 v[148:149], v[34:35], s[24:25]
	v_mul_f64 v[150:151], v[18:19], s[12:13]
	;; [unrolled: 1-line block ×6, first 2 shown]
	v_fma_f64 v[32:33], v[20:21], s[6:7], -v[142:143]
	v_fma_f64 v[36:37], v[40:41], s[14:15], v[146:147]
	v_fma_f64 v[60:61], v[20:21], s[12:13], -v[116:117]
	v_fma_f64 v[100:101], v[40:41], s[24:25], v[118:119]
	;; [unrolled: 2-line block ×3, first 2 shown]
	v_add_f64 v[136:137], v[76:77], -v[98:99]
	v_add_f64 v[30:31], v[76:77], v[98:99]
	v_mul_f64 v[152:153], v[38:39], s[20:21]
	v_mul_f64 v[154:155], v[24:25], s[16:17]
	v_add_f64 v[4:5], v[0:1], v[4:5]
	v_add_f64 v[6:7], v[2:3], v[6:7]
	;; [unrolled: 1-line block ×6, first 2 shown]
	v_mul_f64 v[130:131], v[38:39], s[40:41]
	v_mul_f64 v[132:133], v[24:25], s[22:23]
	;; [unrolled: 1-line block ×4, first 2 shown]
	v_fma_f64 v[122:123], v[22:23], s[12:13], -v[148:149]
	v_fma_f64 v[128:129], v[58:59], s[24:25], v[150:151]
	v_fma_f64 v[140:141], v[22:23], s[6:7], -v[124:125]
	v_fma_f64 v[144:145], v[58:59], s[36:37], v[126:127]
	;; [unrolled: 2-line block ×3, first 2 shown]
	v_add_f64 v[114:115], v[68:69], -v[92:93]
	v_mul_f64 v[156:157], v[136:137], s[26:27]
	v_mul_f64 v[158:159], v[30:31], s[18:19]
	;; [unrolled: 1-line block ×4, first 2 shown]
	v_add_f64 v[4:5], v[32:33], v[4:5]
	v_add_f64 v[6:7], v[36:37], v[6:7]
	;; [unrolled: 1-line block ×7, first 2 shown]
	v_add_f64 v[100:101], v[80:81], -v[94:95]
	v_add_f64 v[36:37], v[80:81], v[94:95]
	v_mul_f64 v[112:113], v[136:137], s[30:31]
	v_mul_f64 v[120:121], v[30:31], s[12:13]
	v_fma_f64 v[192:193], v[28:29], s[16:17], -v[152:153]
	v_fma_f64 v[194:195], v[86:87], s[20:21], v[154:155]
	v_fma_f64 v[196:197], v[28:29], s[22:23], -v[130:131]
	v_fma_f64 v[198:199], v[86:87], s[40:41], v[132:133]
	;; [unrolled: 2-line block ×3, first 2 shown]
	v_add_f64 v[60:61], v[72:73], v[78:79]
	v_add_f64 v[108:109], v[72:73], -v[78:79]
	v_fma_f64 v[206:207], v[114:115], s[26:27], v[158:159]
	v_fma_f64 v[210:211], v[114:115], s[10:11], v[138:139]
	v_add_f64 v[4:5], v[122:123], v[4:5]
	v_add_f64 v[6:7], v[128:129], v[6:7]
	;; [unrolled: 1-line block ×6, first 2 shown]
	v_fma_f64 v[204:205], v[32:33], s[18:19], -v[156:157]
	v_mul_f64 v[160:161], v[100:101], s[40:41]
	v_mul_f64 v[162:163], v[36:37], s[22:23]
	;; [unrolled: 1-line block ×6, first 2 shown]
	v_fma_f64 v[208:209], v[32:33], s[4:5], -v[134:135]
	v_fma_f64 v[212:213], v[32:33], s[12:13], -v[112:113]
	v_fma_f64 v[214:215], v[114:115], s[30:31], v[120:121]
	v_add_f64 v[4:5], v[192:193], v[4:5]
	v_add_f64 v[6:7], v[194:195], v[6:7]
	;; [unrolled: 1-line block ×6, first 2 shown]
	v_fma_f64 v[192:193], v[60:61], s[22:23], -v[160:161]
	v_fma_f64 v[194:195], v[108:109], s[40:41], v[162:163]
	v_fma_f64 v[196:197], v[60:61], s[16:17], -v[140:141]
	v_fma_f64 v[198:199], v[108:109], s[38:39], v[144:145]
	;; [unrolled: 2-line block ×3, first 2 shown]
	v_add_f64 v[4:5], v[204:205], v[4:5]
	v_add_f64 v[6:7], v[206:207], v[6:7]
	v_add_f64 v[8:9], v[208:209], v[8:9]
	v_add_f64 v[10:11], v[210:211], v[10:11]
	v_add_f64 v[204:205], v[212:213], v[12:13]
	v_add_f64 v[206:207], v[214:215], v[14:15]
	v_add_f64 v[12:13], v[192:193], v[4:5]
	v_add_f64 v[14:15], v[194:195], v[6:7]
	v_add_f64 v[8:9], v[196:197], v[8:9]
	v_add_f64 v[10:11], v[198:199], v[10:11]
	v_add_f64 v[4:5], v[200:201], v[204:205]
	v_add_f64 v[6:7], v[202:203], v[206:207]
	s_and_saveexec_b32 s1, s0
	s_cbranch_execz .LBB0_21
; %bb.20:
	v_mul_f64 v[192:193], v[174:175], s[14:15]
	v_mul_f64 v[194:195], v[26:27], s[40:41]
	;; [unrolled: 1-line block ×12, first 2 shown]
	v_add_f64 v[186:187], v[186:187], -v[192:193]
	v_mul_f64 v[192:193], v[174:175], s[28:29]
	v_add_f64 v[132:133], v[132:133], -v[200:201]
	v_fma_f64 v[210:211], v[170:171], s[12:13], v[206:207]
	v_fma_f64 v[206:207], v[170:171], s[12:13], -v[206:207]
	v_fma_f64 v[212:213], v[170:171], s[16:17], v[208:209]
	v_fma_f64 v[208:209], v[170:171], s[16:17], -v[208:209]
	v_fma_f64 v[220:221], v[172:173], s[16:17], -v[216:217]
	v_fma_f64 v[216:217], v[172:173], s[16:17], v[216:217]
	v_add_f64 v[186:187], v[2:3], v[186:187]
	v_add_f64 v[184:185], v[184:185], -v[192:193]
	v_mul_f64 v[192:193], v[174:175], s[10:11]
	v_add_f64 v[206:207], v[2:3], v[206:207]
	v_add_f64 v[212:213], v[2:3], v[212:213]
	;; [unrolled: 1-line block ×6, first 2 shown]
	v_add_f64 v[182:183], v[182:183], -v[192:193]
	v_mul_f64 v[192:193], v[172:173], s[4:5]
	v_add_f64 v[182:183], v[2:3], v[182:183]
	v_add_f64 v[180:181], v[192:193], v[180:181]
	v_mul_f64 v[192:193], v[172:173], s[6:7]
	v_add_f64 v[180:181], v[0:1], v[180:181]
	v_add_f64 v[178:179], v[192:193], v[178:179]
	;; [unrolled: 3-line block ×3, first 2 shown]
	v_mul_f64 v[192:193], v[40:41], s[40:41]
	s_mov_b32 s41, 0xbfddbe06
	v_mul_f64 v[174:175], v[174:175], s[40:41]
	v_add_f64 v[176:177], v[0:1], v[176:177]
	v_fma_f64 v[214:215], v[170:171], s[22:23], -v[174:175]
	v_fma_f64 v[170:171], v[170:171], s[22:23], v[174:175]
	v_mul_f64 v[174:175], v[168:169], s[24:25]
	v_mul_f64 v[168:169], v[168:169], s[40:41]
	v_add_f64 v[214:215], v[2:3], v[214:215]
	v_add_f64 v[170:171], v[2:3], v[170:171]
	v_fma_f64 v[218:219], v[172:173], s[12:13], -v[174:175]
	v_fma_f64 v[174:175], v[172:173], s[12:13], v[174:175]
	v_fma_f64 v[222:223], v[172:173], s[22:23], v[168:169]
	v_fma_f64 v[168:169], v[172:173], s[22:23], -v[168:169]
	v_add_f64 v[172:173], v[2:3], v[164:165]
	v_add_f64 v[164:165], v[2:3], v[210:211]
	v_fma_f64 v[2:3], v[20:21], s[22:23], -v[194:195]
	v_fma_f64 v[194:195], v[20:21], s[22:23], v[194:195]
	v_add_f64 v[210:211], v[0:1], v[218:219]
	v_add_f64 v[174:175], v[0:1], v[174:175]
	;; [unrolled: 1-line block ×5, first 2 shown]
	v_fma_f64 v[0:1], v[16:17], s[22:23], v[192:193]
	v_fma_f64 v[192:193], v[16:17], s[22:23], -v[192:193]
	v_add_f64 v[56:57], v[172:173], v[56:57]
	v_add_f64 v[2:3], v[2:3], v[210:211]
	;; [unrolled: 1-line block ×5, first 2 shown]
	v_mul_f64 v[164:165], v[58:59], s[38:39]
	v_add_f64 v[192:193], v[192:193], v[206:207]
	v_add_f64 v[56:57], v[56:57], v[70:71]
	;; [unrolled: 1-line block ×3, first 2 shown]
	v_mul_f64 v[66:67], v[28:29], s[18:19]
	v_fma_f64 v[166:167], v[18:19], s[16:17], v[164:165]
	v_fma_f64 v[164:165], v[18:19], s[16:17], -v[164:165]
	v_add_f64 v[56:57], v[56:57], v[74:75]
	v_add_f64 v[62:63], v[62:63], v[64:65]
	v_mul_f64 v[64:65], v[22:23], s[22:23]
	v_add_f64 v[66:67], v[66:67], v[106:107]
	v_add_f64 v[0:1], v[166:167], v[0:1]
	v_mul_f64 v[166:167], v[34:35], s[38:39]
	v_add_f64 v[164:165], v[164:165], v[192:193]
	v_fma_f64 v[192:193], v[60:61], s[18:19], v[234:235]
	v_add_f64 v[56:57], v[56:57], v[76:77]
	v_add_f64 v[62:63], v[62:63], v[68:69]
	;; [unrolled: 1-line block ×3, first 2 shown]
	v_mul_f64 v[68:69], v[32:33], s[12:13]
	v_fma_f64 v[210:211], v[22:23], s[16:17], -v[166:167]
	v_fma_f64 v[166:167], v[22:23], s[16:17], v[166:167]
	v_add_f64 v[56:57], v[56:57], v[80:81]
	v_add_f64 v[62:63], v[62:63], v[72:73]
	;; [unrolled: 1-line block ×4, first 2 shown]
	v_mul_f64 v[210:211], v[86:87], s[34:35]
	v_add_f64 v[166:167], v[166:167], v[174:175]
	v_add_f64 v[56:57], v[56:57], v[94:95]
	;; [unrolled: 1-line block ×3, first 2 shown]
	v_fma_f64 v[224:225], v[24:25], s[4:5], v[210:211]
	v_fma_f64 v[174:175], v[24:25], s[4:5], -v[210:211]
	v_add_f64 v[56:57], v[56:57], v[98:99]
	v_add_f64 v[62:63], v[62:63], v[92:93]
	;; [unrolled: 1-line block ×3, first 2 shown]
	v_mul_f64 v[224:225], v[38:39], s[34:35]
	v_add_f64 v[164:165], v[174:175], v[164:165]
	v_add_f64 v[56:57], v[56:57], v[88:89]
	;; [unrolled: 1-line block ×3, first 2 shown]
	v_fma_f64 v[226:227], v[28:29], s[4:5], -v[224:225]
	v_fma_f64 v[174:175], v[28:29], s[4:5], v[224:225]
	v_add_f64 v[42:43], v[56:57], v[42:43]
	v_add_f64 v[56:57], v[62:63], v[82:83]
	v_mul_f64 v[62:63], v[20:21], s[16:17]
	v_add_f64 v[2:3], v[226:227], v[2:3]
	v_mul_f64 v[226:227], v[114:115], s[14:15]
	v_add_f64 v[166:167], v[174:175], v[166:167]
	v_add_f64 v[42:43], v[42:43], v[46:47]
	;; [unrolled: 1-line block ×4, first 2 shown]
	v_mul_f64 v[56:57], v[114:115], s[30:31]
	v_fma_f64 v[228:229], v[30:31], s[6:7], v[226:227]
	v_fma_f64 v[174:175], v[30:31], s[6:7], -v[226:227]
	v_add_f64 v[44:45], v[42:43], v[50:51]
	v_mul_f64 v[50:51], v[40:41], s[20:21]
	v_add_f64 v[42:43], v[46:47], v[48:49]
	v_mul_f64 v[46:47], v[86:87], s[28:29]
	v_add_f64 v[48:49], v[104:105], -v[196:197]
	v_add_f64 v[62:63], v[62:63], v[178:179]
	v_add_f64 v[56:57], v[120:121], -v[56:57]
	v_add_f64 v[0:1], v[228:229], v[0:1]
	v_mul_f64 v[228:229], v[136:137], s[14:15]
	v_add_f64 v[164:165], v[174:175], v[164:165]
	v_add_f64 v[50:51], v[90:91], -v[50:51]
	v_mul_f64 v[136:137], v[136:137], s[38:39]
	v_add_f64 v[46:47], v[110:111], -v[46:47]
	v_fma_f64 v[174:175], v[32:33], s[6:7], v[228:229]
	v_fma_f64 v[230:231], v[32:33], s[6:7], -v[228:229]
	v_add_f64 v[50:51], v[50:51], v[186:187]
	v_add_f64 v[174:175], v[174:175], v[166:167]
	v_fma_f64 v[166:167], v[36:37], s[18:19], -v[232:233]
	v_add_f64 v[48:49], v[48:49], v[50:51]
	v_add_f64 v[50:51], v[64:65], v[62:63]
	v_mul_f64 v[62:63], v[108:109], s[34:35]
	v_add_f64 v[230:231], v[230:231], v[2:3]
	v_fma_f64 v[2:3], v[36:37], s[18:19], v[232:233]
	v_add_f64 v[166:167], v[166:167], v[164:165]
	v_add_f64 v[164:165], v[192:193], v[174:175]
	v_mul_f64 v[174:175], v[40:41], s[14:15]
	v_mul_f64 v[192:193], v[100:101], s[24:25]
	v_add_f64 v[46:47], v[46:47], v[48:49]
	v_add_f64 v[48:49], v[66:67], v[50:51]
	v_mul_f64 v[50:51], v[60:61], s[4:5]
	v_add_f64 v[62:63], v[128:129], -v[62:63]
	v_mul_f64 v[66:67], v[100:101], s[14:15]
	v_add_f64 v[2:3], v[2:3], v[0:1]
	v_fma_f64 v[0:1], v[60:61], s[18:19], -v[234:235]
	v_add_f64 v[146:147], v[146:147], -v[174:175]
	v_mul_f64 v[174:175], v[20:21], s[6:7]
	v_add_f64 v[46:47], v[56:57], v[46:47]
	v_add_f64 v[56:57], v[68:69], v[48:49]
	;; [unrolled: 1-line block ×6, first 2 shown]
	v_mul_f64 v[174:175], v[58:59], s[24:25]
	v_mul_f64 v[182:183], v[108:109], s[24:25]
	v_add_f64 v[48:49], v[62:63], v[46:47]
	v_add_f64 v[46:47], v[50:51], v[56:57]
	v_mul_f64 v[50:51], v[40:41], s[26:27]
	v_mul_f64 v[56:57], v[58:59], s[10:11]
	;; [unrolled: 1-line block ×3, first 2 shown]
	v_add_f64 v[142:143], v[142:143], v[180:181]
	v_add_f64 v[150:151], v[150:151], -v[174:175]
	v_mul_f64 v[174:175], v[22:23], s[12:13]
	v_fma_f64 v[64:65], v[24:25], s[12:13], -v[62:63]
	v_add_f64 v[146:147], v[150:151], v[146:147]
	v_add_f64 v[148:149], v[174:175], v[148:149]
	v_mul_f64 v[174:175], v[86:87], s[20:21]
	v_add_f64 v[150:151], v[162:163], -v[202:203]
	v_add_f64 v[142:143], v[148:149], v[142:143]
	v_add_f64 v[154:155], v[154:155], -v[174:175]
	v_mul_f64 v[174:175], v[28:29], s[16:17]
	v_mul_f64 v[148:149], v[32:33], s[18:19]
	v_add_f64 v[146:147], v[154:155], v[146:147]
	v_add_f64 v[152:153], v[174:175], v[152:153]
	v_mul_f64 v[174:175], v[114:115], s[26:27]
	v_add_f64 v[148:149], v[148:149], v[156:157]
	v_mul_f64 v[156:157], v[58:59], s[28:29]
	v_mul_f64 v[154:155], v[26:27], s[10:11]
	;; [unrolled: 1-line block ×3, first 2 shown]
	v_add_f64 v[142:143], v[152:153], v[142:143]
	v_add_f64 v[158:159], v[158:159], -v[174:175]
	v_mul_f64 v[152:153], v[60:61], s[22:23]
	v_add_f64 v[142:143], v[148:149], v[142:143]
	v_add_f64 v[146:147], v[158:159], v[146:147]
	;; [unrolled: 1-line block ×3, first 2 shown]
	v_fma_f64 v[158:159], v[18:19], s[18:19], -v[156:157]
	v_add_f64 v[148:149], v[150:151], v[146:147]
	v_add_f64 v[146:147], v[152:153], v[142:143]
	v_mul_f64 v[142:143], v[40:41], s[10:11]
	v_fma_f64 v[152:153], v[20:21], s[4:5], v[154:155]
	v_fma_f64 v[150:151], v[16:17], s[4:5], -v[142:143]
	v_add_f64 v[152:153], v[152:153], v[222:223]
	v_add_f64 v[150:151], v[150:151], v[214:215]
	;; [unrolled: 1-line block ×3, first 2 shown]
	v_mul_f64 v[158:159], v[34:35], s[28:29]
	v_mul_f64 v[34:35], v[34:35], s[10:11]
	v_fma_f64 v[160:161], v[22:23], s[18:19], v[158:159]
	v_add_f64 v[152:153], v[160:161], v[152:153]
	v_mul_f64 v[160:161], v[86:87], s[14:15]
	v_fma_f64 v[162:163], v[24:25], s[6:7], -v[160:161]
	v_add_f64 v[150:151], v[162:163], v[150:151]
	v_mul_f64 v[162:163], v[38:39], s[14:15]
	v_fma_f64 v[174:175], v[28:29], s[6:7], v[162:163]
	v_add_f64 v[152:153], v[174:175], v[152:153]
	v_mul_f64 v[174:175], v[114:115], s[38:39]
	v_fma_f64 v[180:181], v[30:31], s[16:17], -v[174:175]
	v_add_f64 v[150:151], v[180:181], v[150:151]
	v_fma_f64 v[180:181], v[32:33], s[16:17], v[136:137]
	v_add_f64 v[180:181], v[180:181], v[152:153]
	v_fma_f64 v[152:153], v[36:37], s[12:13], -v[182:183]
	v_add_f64 v[152:153], v[152:153], v[150:151]
	v_fma_f64 v[150:151], v[60:61], s[12:13], v[192:193]
	v_add_f64 v[150:151], v[150:151], v[180:181]
	v_mul_f64 v[180:181], v[40:41], s[24:25]
	v_fma_f64 v[40:41], v[16:17], s[18:19], -v[50:51]
	v_fma_f64 v[50:51], v[16:17], s[18:19], v[50:51]
	v_fma_f64 v[16:17], v[16:17], s[4:5], v[142:143]
	v_add_f64 v[118:119], v[118:119], -v[180:181]
	v_mul_f64 v[180:181], v[20:21], s[12:13]
	v_add_f64 v[40:41], v[40:41], v[208:209]
	v_add_f64 v[50:51], v[50:51], v[212:213]
	;; [unrolled: 1-line block ×5, first 2 shown]
	v_mul_f64 v[180:181], v[58:59], s[36:37]
	v_fma_f64 v[58:59], v[18:19], s[4:5], -v[56:57]
	v_fma_f64 v[56:57], v[18:19], s[4:5], v[56:57]
	v_fma_f64 v[18:19], v[18:19], s[18:19], v[156:157]
	v_add_f64 v[116:117], v[116:117], v[176:177]
	v_add_f64 v[126:127], v[126:127], -v[180:181]
	v_add_f64 v[40:41], v[58:59], v[40:41]
	v_fma_f64 v[58:59], v[20:21], s[18:19], v[26:27]
	v_fma_f64 v[26:27], v[20:21], s[18:19], -v[26:27]
	v_mul_f64 v[180:181], v[22:23], s[6:7]
	v_add_f64 v[50:51], v[56:57], v[50:51]
	v_fma_f64 v[20:21], v[20:21], s[4:5], -v[154:155]
	v_add_f64 v[16:17], v[18:19], v[16:17]
	v_fma_f64 v[18:19], v[28:29], s[6:7], -v[162:163]
	v_fma_f64 v[56:57], v[60:61], s[6:7], -v[66:67]
	v_add_f64 v[118:119], v[126:127], v[118:119]
	v_add_f64 v[40:41], v[64:65], v[40:41]
	;; [unrolled: 1-line block ×3, first 2 shown]
	v_fma_f64 v[64:65], v[22:23], s[4:5], v[34:35]
	v_add_f64 v[26:27], v[26:27], v[220:221]
	v_fma_f64 v[34:35], v[22:23], s[4:5], -v[34:35]
	v_add_f64 v[124:125], v[180:181], v[124:125]
	v_mul_f64 v[126:127], v[28:29], s[22:23]
	v_fma_f64 v[22:23], v[22:23], s[18:19], -v[158:159]
	v_add_f64 v[20:21], v[20:21], v[168:169]
	v_add_f64 v[118:119], v[132:133], v[118:119]
	;; [unrolled: 1-line block ×3, first 2 shown]
	v_fma_f64 v[64:65], v[30:31], s[22:23], -v[198:199]
	v_add_f64 v[26:27], v[34:35], v[26:27]
	v_fma_f64 v[34:35], v[24:25], s[12:13], v[62:63]
	v_add_f64 v[116:117], v[124:125], v[116:117]
	v_mul_f64 v[124:125], v[114:115], s[10:11]
	v_add_f64 v[126:127], v[126:127], v[130:131]
	v_mul_f64 v[130:131], v[32:33], s[4:5]
	v_fma_f64 v[24:25], v[24:25], s[6:7], v[160:161]
	v_add_f64 v[20:21], v[22:23], v[20:21]
	v_fma_f64 v[22:23], v[30:31], s[16:17], v[174:175]
	v_add_f64 v[40:41], v[64:65], v[40:41]
	v_mul_f64 v[64:65], v[38:39], s[30:31]
	v_add_f64 v[34:35], v[34:35], v[50:51]
	v_fma_f64 v[50:51], v[30:31], s[22:23], v[198:199]
	v_add_f64 v[124:125], v[138:139], -v[124:125]
	v_add_f64 v[116:117], v[126:127], v[116:117]
	v_add_f64 v[130:131], v[130:131], v[134:135]
	v_mul_f64 v[126:127], v[108:109], s[38:39]
	v_add_f64 v[16:17], v[24:25], v[16:17]
	v_fma_f64 v[24:25], v[32:33], s[16:17], -v[136:137]
	v_add_f64 v[18:19], v[18:19], v[20:21]
	v_fma_f64 v[20:21], v[36:37], s[12:13], v[182:183]
	v_fma_f64 v[38:39], v[28:29], s[12:13], v[64:65]
	v_add_f64 v[34:35], v[50:51], v[34:35]
	v_fma_f64 v[50:51], v[28:29], s[12:13], -v[64:65]
	v_add_f64 v[118:119], v[124:125], v[118:119]
	v_mul_f64 v[124:125], v[60:61], s[16:17]
	v_add_f64 v[126:127], v[144:145], -v[126:127]
	v_add_f64 v[116:117], v[130:131], v[116:117]
	v_add_f64 v[16:17], v[22:23], v[16:17]
	v_fma_f64 v[22:23], v[60:61], s[12:13], -v[192:193]
	v_add_f64 v[24:25], v[24:25], v[18:19]
	v_lshrrev_b32_e32 v18, 1, v52
	v_add_f64 v[38:39], v[38:39], v[58:59]
	v_fma_f64 v[58:59], v[32:33], s[22:23], v[204:205]
	v_add_f64 v[26:27], v[50:51], v[26:27]
	v_fma_f64 v[50:51], v[32:33], s[22:23], -v[204:205]
	v_add_f64 v[124:125], v[124:125], v[140:141]
	v_add_f64 v[118:119], v[126:127], v[118:119]
	;; [unrolled: 1-line block ×3, first 2 shown]
	v_mul_f64 v[58:59], v[108:109], s[14:15]
	v_add_f64 v[26:27], v[50:51], v[26:27]
	v_add_f64 v[116:117], v[124:125], v[116:117]
	v_fma_f64 v[68:69], v[36:37], s[6:7], -v[58:59]
	v_fma_f64 v[50:51], v[36:37], s[6:7], v[58:59]
	v_add_f64 v[56:57], v[56:57], v[26:27]
	v_mul_u32_u24_e32 v26, 26, v18
	v_add_f64 v[18:19], v[20:21], v[16:17]
	v_add_f64 v[16:17], v[22:23], v[24:25]
	v_or_b32_e32 v20, v26, v191
	v_lshl_add_u32 v20, v20, 4, 0
	v_add_f64 v[40:41], v[68:69], v[40:41]
	v_fma_f64 v[68:69], v[60:61], s[6:7], v[66:67]
	v_add_f64 v[58:59], v[50:51], v[34:35]
	v_add_f64 v[38:39], v[68:69], v[38:39]
	ds_write_b128 v20, v[42:45]
	ds_write_b128 v20, v[150:153] offset:32
	ds_write_b128 v20, v[146:149] offset:64
	ds_write_b128 v20, v[116:119] offset:96
	ds_write_b128 v20, v[46:49] offset:128
	ds_write_b128 v20, v[38:41] offset:160
	ds_write_b128 v20, v[164:167] offset:192
	ds_write_b128 v20, v[0:3] offset:224
	ds_write_b128 v20, v[56:59] offset:256
	ds_write_b128 v20, v[4:7] offset:288
	ds_write_b128 v20, v[8:11] offset:320
	ds_write_b128 v20, v[12:15] offset:352
	ds_write_b128 v20, v[16:19] offset:384
.LBB0_21:
	s_or_b32 exec_lo, exec_lo, s1
	s_waitcnt lgkmcnt(0)
	s_barrier
	buffer_gl0_inv
	ds_read_b128 v[16:19], v188
	ds_read_b128 v[0:3], v188 offset:1872
	ds_read_b128 v[36:39], v188 offset:12480
	;; [unrolled: 1-line block ×8, first 2 shown]
	v_cmp_gt_u32_e64 s0, 39, v52
	s_and_saveexec_b32 s1, s0
	s_cbranch_execz .LBB0_23
; %bb.22:
	ds_read_b128 v[4:7], v188 offset:5616
	ds_read_b128 v[8:11], v188 offset:11856
	ds_read_b128 v[12:15], v188 offset:18096
.LBB0_23:
	s_or_b32 exec_lo, exec_lo, s1
	v_and_b32_e32 v48, 0xff, v52
	v_and_b32_e32 v49, 0xff, v189
	v_mov_b32_e32 v50, 0x4ec5
	v_mov_b32_e32 v51, 5
	s_mov_b32 s4, 0xe8584caa
	v_mul_lo_u16 v48, 0x4f, v48
	v_mul_lo_u16 v49, 0x4f, v49
	s_mov_b32 s5, 0xbfebb67a
	s_mov_b32 s7, 0x3febb67a
	;; [unrolled: 1-line block ×3, first 2 shown]
	v_lshrrev_b16 v102, 11, v48
	v_mul_u32_u24_sdwa v48, v190, v50 dst_sel:DWORD dst_unused:UNUSED_PAD src0_sel:WORD_0 src1_sel:DWORD
	v_mul_u32_u24_sdwa v50, v53, v50 dst_sel:DWORD dst_unused:UNUSED_PAD src0_sel:WORD_0 src1_sel:DWORD
	v_lshrrev_b16 v103, 11, v49
	v_mul_lo_u16 v49, v102, 26
	v_lshrrev_b32_e32 v104, 19, v48
	v_lshrrev_b32_e32 v48, 19, v50
	v_mul_lo_u16 v56, v103, 26
	v_sub_nc_u16 v105, v52, v49
	v_mul_lo_u16 v49, v104, 26
	v_mul_lo_u16 v64, v48, 26
	v_sub_nc_u16 v106, v189, v56
	v_lshlrev_b32_sdwa v50, v51, v105 dst_sel:DWORD dst_unused:UNUSED_PAD src0_sel:DWORD src1_sel:BYTE_0
	v_sub_nc_u16 v107, v190, v49
	v_sub_nc_u16 v49, v53, v64
	v_lshlrev_b32_sdwa v68, v51, v106 dst_sel:DWORD dst_unused:UNUSED_PAD src0_sel:DWORD src1_sel:BYTE_0
	s_clause 0x1
	global_load_dwordx4 v[56:59], v50, s[8:9] offset:384
	global_load_dwordx4 v[60:63], v50, s[8:9] offset:400
	v_lshlrev_b32_sdwa v50, v51, v107 dst_sel:DWORD dst_unused:UNUSED_PAD src0_sel:DWORD src1_sel:WORD_0
	v_lshlrev_b32_sdwa v51, v51, v49 dst_sel:DWORD dst_unused:UNUSED_PAD src0_sel:DWORD src1_sel:WORD_0
	s_clause 0x5
	global_load_dwordx4 v[64:67], v68, s[8:9] offset:384
	global_load_dwordx4 v[68:71], v68, s[8:9] offset:400
	;; [unrolled: 1-line block ×6, first 2 shown]
	s_waitcnt vmcnt(0) lgkmcnt(0)
	s_barrier
	buffer_gl0_inv
	v_mul_f64 v[50:51], v[46:47], v[58:59]
	v_mul_f64 v[58:59], v[44:45], v[58:59]
	;; [unrolled: 1-line block ×16, first 2 shown]
	v_fma_f64 v[44:45], v[44:45], v[56:57], v[50:51]
	v_fma_f64 v[46:47], v[46:47], v[56:57], -v[58:59]
	v_fma_f64 v[36:37], v[36:37], v[60:61], v[88:89]
	v_fma_f64 v[38:39], v[38:39], v[60:61], -v[62:63]
	;; [unrolled: 2-line block ×4, first 2 shown]
	v_fma_f64 v[24:25], v[8:9], v[80:81], v[98:99]
	v_fma_f64 v[12:13], v[12:13], v[84:85], v[100:101]
	v_fma_f64 v[26:27], v[10:11], v[80:81], -v[82:83]
	v_fma_f64 v[14:15], v[14:15], v[84:85], -v[86:87]
	v_fma_f64 v[58:59], v[28:29], v[72:73], v[94:95]
	v_fma_f64 v[32:33], v[32:33], v[76:77], v[96:97]
	v_fma_f64 v[29:30], v[30:31], v[72:73], -v[74:75]
	v_fma_f64 v[34:35], v[34:35], v[76:77], -v[78:79]
	v_mov_b32_e32 v92, 0x4e0
	v_mov_b32_e32 v28, 4
	v_add_f64 v[72:73], v[16:17], v[44:45]
	v_add_f64 v[8:9], v[44:45], v[36:37]
	;; [unrolled: 1-line block ×3, first 2 shown]
	v_add_f64 v[74:75], v[46:47], -v[38:39]
	v_add_f64 v[46:47], v[18:19], v[46:47]
	v_add_f64 v[60:61], v[40:41], v[50:51]
	;; [unrolled: 1-line block ×11, first 2 shown]
	v_add_f64 v[44:45], v[44:45], -v[36:37]
	v_add_f64 v[84:85], v[42:43], -v[56:57]
	;; [unrolled: 1-line block ×5, first 2 shown]
	v_fma_f64 v[8:9], v[8:9], -0.5, v[16:17]
	v_fma_f64 v[10:11], v[10:11], -0.5, v[18:19]
	v_add_f64 v[16:17], v[72:73], v[36:37]
	v_add_f64 v[18:19], v[46:47], v[38:39]
	v_fma_f64 v[0:1], v[60:61], -0.5, v[0:1]
	v_add_f64 v[60:61], v[40:41], -v[50:51]
	v_fma_f64 v[2:3], v[62:63], -0.5, v[2:3]
	v_fma_f64 v[68:69], v[68:69], -0.5, v[4:5]
	v_add_f64 v[62:63], v[29:30], -v[34:35]
	v_fma_f64 v[70:71], v[70:71], -0.5, v[6:7]
	v_add_f64 v[29:30], v[80:81], v[32:33]
	v_fma_f64 v[64:65], v[64:65], -0.5, v[20:21]
	v_add_f64 v[31:32], v[82:83], v[34:35]
	;; [unrolled: 2-line block ×3, first 2 shown]
	v_add_f64 v[20:21], v[76:77], v[50:51]
	v_lshlrev_b32_sdwa v47, v28, v105 dst_sel:DWORD dst_unused:UNUSED_PAD src0_sel:DWORD src1_sel:BYTE_0
	v_mul_u32_u24_sdwa v46, v103, v92 dst_sel:DWORD dst_unused:UNUSED_PAD src0_sel:WORD_0 src1_sel:DWORD
	v_lshlrev_b32_sdwa v51, v28, v106 dst_sel:DWORD dst_unused:UNUSED_PAD src0_sel:DWORD src1_sel:BYTE_0
	v_mul_u32_u24_e32 v50, 0x4e0, v104
	v_fma_f64 v[33:34], v[74:75], s[4:5], v[8:9]
	v_fma_f64 v[37:38], v[74:75], s[6:7], v[8:9]
	;; [unrolled: 1-line block ×16, first 2 shown]
	v_mul_u32_u24_sdwa v45, v102, v92 dst_sel:DWORD dst_unused:UNUSED_PAD src0_sel:WORD_0 src1_sel:DWORD
	v_lshlrev_b32_sdwa v68, v28, v107 dst_sel:DWORD dst_unused:UNUSED_PAD src0_sel:DWORD src1_sel:WORD_0
	v_add3_u32 v46, 0, v46, v51
	v_add3_u32 v45, 0, v45, v47
	;; [unrolled: 1-line block ×3, first 2 shown]
	ds_write_b128 v45, v[16:19]
	ds_write_b128 v45, v[33:36] offset:416
	ds_write_b128 v45, v[37:40] offset:832
	ds_write_b128 v46, v[20:23]
	ds_write_b128 v46, v[41:44] offset:416
	ds_write_b128 v46, v[56:59] offset:832
	;; [unrolled: 3-line block ×3, first 2 shown]
	s_and_saveexec_b32 s1, s0
	s_cbranch_execz .LBB0_25
; %bb.24:
	v_add_f64 v[6:7], v[6:7], v[26:27]
	v_add_f64 v[4:5], v[4:5], v[24:25]
	;; [unrolled: 1-line block ×4, first 2 shown]
	v_mul_lo_u16 v12, 0x4e, v48
	v_lshlrev_b32_sdwa v13, v28, v49 dst_sel:DWORD dst_unused:UNUSED_PAD src0_sel:DWORD src1_sel:WORD_0
	v_lshlrev_b32_sdwa v12, v28, v12 dst_sel:DWORD dst_unused:UNUSED_PAD src0_sel:DWORD src1_sel:WORD_0
	v_add3_u32 v12, 0, v13, v12
	ds_write_b128 v12, v[0:3] offset:416
	ds_write_b128 v12, v[4:7]
	ds_write_b128 v12, v[8:11] offset:832
.LBB0_25:
	s_or_b32 exec_lo, exec_lo, s1
	v_add_nc_u32_e32 v4, 0xffffffb2, v52
	v_lshrrev_b16 v5, 1, v189
	v_cmp_gt_u32_e64 s1, 0x4e, v52
	v_mov_b32_e32 v49, 0
	v_mov_b32_e32 v24, 6
	s_waitcnt lgkmcnt(0)
	s_barrier
	v_cndmask_b32_e64 v114, v4, v52, s1
	v_and_b32_e32 v4, 0x7f, v5
	buffer_gl0_inv
	s_mov_b32 s6, 0x134454ff
	s_mov_b32 s7, 0xbfee6f0e
	v_lshlrev_b32_e32 v48, 2, v114
	v_mul_lo_u16 v6, 0xd3, v4
	s_mov_b32 s13, 0x3fee6f0e
	s_mov_b32 s12, s6
	;; [unrolled: 1-line block ×3, first 2 shown]
	v_lshlrev_b64 v[4:5], 4, v[48:49]
	v_lshrrev_b16 v115, 13, v6
	s_mov_b32 s5, 0xbfe2cf23
	s_mov_b32 s11, 0x3fe2cf23
	;; [unrolled: 1-line block ×3, first 2 shown]
	v_mul_lo_u16 v16, 0x4e, v115
	v_add_co_u32 v20, s1, s8, v4
	v_add_co_ci_u32_e64 v21, s1, s9, v5, s1
	v_sub_nc_u16 v116, v189, v16
	s_clause 0x3
	global_load_dwordx4 v[4:7], v[20:21], off offset:1216
	global_load_dwordx4 v[12:15], v[20:21], off offset:1232
	;; [unrolled: 1-line block ×4, first 2 shown]
	v_lshlrev_b32_sdwa v37, v24, v116 dst_sel:DWORD dst_unused:UNUSED_PAD src0_sel:DWORD src1_sel:BYTE_0
	v_cmp_lt_u32_e64 s1, 0x4d, v52
	s_clause 0x3
	global_load_dwordx4 v[24:27], v37, s[8:9] offset:1216
	global_load_dwordx4 v[29:32], v37, s[8:9] offset:1232
	;; [unrolled: 1-line block ×4, first 2 shown]
	ds_read_b128 v[41:44], v188 offset:3744
	ds_read_b128 v[45:48], v188 offset:7488
	;; [unrolled: 1-line block ×8, first 2 shown]
	v_lshlrev_b32_sdwa v28, v28, v116 dst_sel:DWORD dst_unused:UNUSED_PAD src0_sel:DWORD src1_sel:BYTE_0
	s_waitcnt vmcnt(7) lgkmcnt(7)
	v_mul_f64 v[50:51], v[43:44], v[6:7]
	s_waitcnt vmcnt(6) lgkmcnt(6)
	v_mul_f64 v[80:81], v[47:48], v[14:15]
	v_mul_f64 v[14:15], v[45:46], v[14:15]
	s_waitcnt vmcnt(5) lgkmcnt(5)
	v_mul_f64 v[82:83], v[58:59], v[18:19]
	v_mul_f64 v[18:19], v[56:57], v[18:19]
	;; [unrolled: 1-line block ×3, first 2 shown]
	s_waitcnt vmcnt(4) lgkmcnt(4)
	v_mul_f64 v[84:85], v[60:61], v[22:23]
	v_mul_f64 v[22:23], v[62:63], v[22:23]
	s_waitcnt vmcnt(3) lgkmcnt(3)
	v_mul_f64 v[86:87], v[66:67], v[26:27]
	v_mul_f64 v[26:27], v[64:65], v[26:27]
	;; [unrolled: 3-line block ×5, first 2 shown]
	v_fma_f64 v[41:42], v[41:42], v[4:5], v[50:51]
	v_fma_f64 v[45:46], v[45:46], v[12:13], v[80:81]
	v_fma_f64 v[47:48], v[47:48], v[12:13], -v[14:15]
	v_fma_f64 v[50:51], v[56:57], v[16:17], v[82:83]
	v_fma_f64 v[16:17], v[58:59], v[16:17], -v[18:19]
	v_fma_f64 v[43:44], v[43:44], v[4:5], -v[6:7]
	;; [unrolled: 1-line block ×3, first 2 shown]
	v_fma_f64 v[18:19], v[60:61], v[20:21], v[22:23]
	v_fma_f64 v[20:21], v[64:65], v[24:25], v[86:87]
	v_fma_f64 v[22:23], v[66:67], v[24:25], -v[26:27]
	v_fma_f64 v[24:25], v[68:69], v[29:30], v[88:89]
	v_fma_f64 v[26:27], v[70:71], v[29:30], -v[31:32]
	;; [unrolled: 2-line block ×4, first 2 shown]
	ds_read_b128 v[4:7], v188
	ds_read_b128 v[12:15], v188 offset:1872
	s_waitcnt lgkmcnt(0)
	s_barrier
	buffer_gl0_inv
	v_add_f64 v[62:63], v[41:42], -v[45:46]
	v_add_f64 v[68:69], v[45:46], -v[41:42]
	v_add_f64 v[39:40], v[45:46], v[50:51]
	v_add_f64 v[74:75], v[47:48], v[16:17]
	v_add_f64 v[78:79], v[43:44], -v[47:48]
	v_add_f64 v[82:83], v[43:44], v[56:57]
	v_add_f64 v[66:67], v[41:42], v[18:19]
	v_add_f64 v[64:65], v[18:19], -v[50:51]
	v_add_f64 v[58:59], v[43:44], -v[56:57]
	;; [unrolled: 1-line block ×4, first 2 shown]
	v_add_f64 v[86:87], v[24:25], v[29:30]
	v_add_f64 v[94:95], v[26:27], v[31:32]
	;; [unrolled: 1-line block ×6, first 2 shown]
	v_add_f64 v[41:42], v[41:42], -v[18:19]
	v_add_f64 v[43:44], v[47:48], -v[43:44]
	;; [unrolled: 1-line block ×3, first 2 shown]
	v_add_f64 v[88:89], v[12:13], v[20:21]
	v_add_f64 v[108:109], v[14:15], v[22:23]
	v_add_f64 v[60:61], v[47:48], -v[16:17]
	v_add_f64 v[76:77], v[45:46], -v[50:51]
	v_fma_f64 v[39:40], v[39:40], -0.5, v[4:5]
	v_fma_f64 v[74:75], v[74:75], -0.5, v[6:7]
	v_add_f64 v[92:93], v[22:23], -v[35:36]
	v_fma_f64 v[6:7], v[82:83], -0.5, v[6:7]
	v_fma_f64 v[4:5], v[66:67], -0.5, v[4:5]
	v_add_f64 v[100:101], v[20:21], -v[24:25]
	v_add_f64 v[104:105], v[24:25], -v[20:21]
	;; [unrolled: 1-line block ×4, first 2 shown]
	v_fma_f64 v[86:87], v[86:87], -0.5, v[12:13]
	v_add_f64 v[102:103], v[33:34], -v[29:30]
	v_add_f64 v[37:38], v[37:38], v[45:46]
	v_add_f64 v[45:46], v[62:63], v[64:65]
	v_fma_f64 v[62:63], v[94:95], -0.5, v[14:15]
	v_add_f64 v[110:111], v[24:25], -v[29:30]
	v_fma_f64 v[12:13], v[90:91], -0.5, v[12:13]
	v_fma_f64 v[14:15], v[98:99], -0.5, v[14:15]
	v_add_f64 v[112:113], v[22:23], -v[26:27]
	v_add_f64 v[22:23], v[26:27], -v[22:23]
	;; [unrolled: 1-line block ×3, first 2 shown]
	v_add_f64 v[47:48], v[72:73], v[47:48]
	v_add_f64 v[64:65], v[68:69], v[70:71]
	;; [unrolled: 1-line block ×6, first 2 shown]
	v_fma_f64 v[78:79], v[58:59], s[6:7], v[39:40]
	v_fma_f64 v[39:40], v[58:59], s[12:13], v[39:40]
	v_fma_f64 v[84:85], v[41:42], s[12:13], v[74:75]
	v_fma_f64 v[80:81], v[60:61], s[12:13], v[4:5]
	v_fma_f64 v[88:89], v[76:77], s[6:7], v[6:7]
	v_fma_f64 v[4:5], v[60:61], s[6:7], v[4:5]
	v_fma_f64 v[6:7], v[76:77], s[12:13], v[6:7]
	v_fma_f64 v[74:75], v[41:42], s[6:7], v[74:75]
	v_add_f64 v[66:67], v[35:36], -v[31:32]
	v_fma_f64 v[90:91], v[92:93], s[6:7], v[86:87]
	v_fma_f64 v[98:99], v[20:21], s[12:13], v[62:63]
	v_add_f64 v[106:107], v[29:30], -v[33:34]
	v_add_f64 v[70:71], v[100:101], v[102:103]
	v_fma_f64 v[94:95], v[96:97], s[12:13], v[12:13]
	v_fma_f64 v[100:101], v[110:111], s[6:7], v[14:15]
	;; [unrolled: 1-line block ×6, first 2 shown]
	v_add_f64 v[82:83], v[22:23], v[82:83]
	v_add_f64 v[22:23], v[37:38], v[50:51]
	;; [unrolled: 1-line block ×5, first 2 shown]
	v_fma_f64 v[29:30], v[60:61], s[4:5], v[78:79]
	v_fma_f64 v[31:32], v[60:61], s[10:11], v[39:40]
	;; [unrolled: 1-line block ×8, first 2 shown]
	v_add_f64 v[66:67], v[112:113], v[66:67]
	v_fma_f64 v[41:42], v[96:97], s[4:5], v[90:91]
	v_fma_f64 v[76:77], v[110:111], s[10:11], v[98:99]
	v_add_f64 v[72:73], v[104:105], v[106:107]
	v_fma_f64 v[60:61], v[92:93], s[4:5], v[94:95]
	v_fma_f64 v[78:79], v[20:21], s[10:11], v[100:101]
	;; [unrolled: 1-line block ×6, first 2 shown]
	s_mov_b32 s4, 0x372fe950
	s_mov_b32 s5, 0x3fd3c6ef
	v_add_f64 v[12:13], v[22:23], v[18:19]
	v_add_f64 v[14:15], v[16:17], v[56:57]
	v_fma_f64 v[20:21], v[45:46], s[4:5], v[29:30]
	v_add_f64 v[16:17], v[24:25], v[33:34]
	v_fma_f64 v[22:23], v[68:69], s[4:5], v[39:40]
	v_fma_f64 v[24:25], v[45:46], s[4:5], v[31:32]
	;; [unrolled: 1-line block ×4, first 2 shown]
	v_add_f64 v[18:19], v[26:27], v[35:36]
	v_fma_f64 v[33:34], v[64:65], s[4:5], v[4:5]
	v_fma_f64 v[35:36], v[43:44], s[4:5], v[6:7]
	;; [unrolled: 1-line block ×11, first 2 shown]
	v_mov_b32_e32 v84, 0x1860
	v_cndmask_b32_e64 v50, 0, 0x1860, s1
	v_lshlrev_b32_e32 v51, 4, v114
	v_mul_u32_u24_sdwa v56, v115, v84 dst_sel:DWORD dst_unused:UNUSED_PAD src0_sel:WORD_0 src1_sel:DWORD
	v_add3_u32 v50, 0, v50, v51
	v_add3_u32 v28, 0, v56, v28
	ds_write_b128 v50, v[12:15]
	ds_write_b128 v50, v[20:23] offset:1248
	ds_write_b128 v50, v[29:32] offset:2496
	;; [unrolled: 1-line block ×4, first 2 shown]
	ds_write_b128 v28, v[16:19]
	ds_write_b128 v28, v[37:40] offset:1248
	ds_write_b128 v28, v[41:44] offset:2496
	;; [unrolled: 1-line block ×4, first 2 shown]
	s_waitcnt lgkmcnt(0)
	s_barrier
	buffer_gl0_inv
	ds_read_b128 v[20:23], v188
	ds_read_b128 v[12:15], v188 offset:1872
	ds_read_b128 v[36:39], v188 offset:12480
	;; [unrolled: 1-line block ×8, first 2 shown]
	v_lshlrev_b32_e32 v56, 1, v189
	v_lshlrev_b32_e32 v50, 1, v190
	s_and_saveexec_b32 s1, s0
	s_cbranch_execz .LBB0_27
; %bb.26:
	ds_read_b128 v[4:7], v188 offset:5616
	ds_read_b128 v[0:3], v188 offset:11856
	;; [unrolled: 1-line block ×3, first 2 shown]
.LBB0_27:
	s_or_b32 exec_lo, exec_lo, s1
	v_lshlrev_b32_e32 v48, 1, v52
	s_mov_b32 s4, 0xe8584caa
	s_mov_b32 s5, 0xbfebb67a
	;; [unrolled: 1-line block ×4, first 2 shown]
	v_lshlrev_b64 v[57:58], 4, v[48:49]
	v_add_co_u32 v48, s1, s8, v57
	v_add_co_ci_u32_e64 v51, s1, s9, v58, s1
	v_mov_b32_e32 v57, v49
	v_add_co_u32 v58, s1, 0x1800, v48
	v_add_co_ci_u32_e64 v59, s1, 0, v51, s1
	v_lshlrev_b64 v[64:65], 4, v[56:57]
	v_add_co_u32 v60, s1, 0x1840, v48
	v_add_co_ci_u32_e64 v61, s1, 0, v51, s1
	v_mov_b32_e32 v51, v49
	v_add_co_u32 v66, s1, s8, v64
	v_add_co_ci_u32_e64 v67, s1, s9, v65, s1
	v_lshlrev_b64 v[48:49], 4, v[50:51]
	v_add_co_u32 v64, s1, 0x1840, v66
	v_add_co_ci_u32_e64 v65, s1, 0, v67, s1
	s_clause 0x1
	global_load_dwordx4 v[56:59], v[58:59], off offset:64
	global_load_dwordx4 v[60:63], v[60:61], off offset:16
	v_add_co_u32 v50, s1, s8, v48
	v_add_co_ci_u32_e64 v51, s1, s9, v49, s1
	v_add_co_u32 v48, s1, 0x1800, v66
	v_add_co_ci_u32_e64 v49, s1, 0, v67, s1
	;; [unrolled: 2-line block ×4, first 2 shown]
	s_clause 0x3
	global_load_dwordx4 v[48:51], v[48:49], off offset:64
	global_load_dwordx4 v[64:67], v[64:65], off offset:16
	;; [unrolled: 1-line block ×4, first 2 shown]
	s_waitcnt vmcnt(0) lgkmcnt(0)
	s_barrier
	buffer_gl0_inv
	v_mul_f64 v[76:77], v[46:47], v[58:59]
	v_mul_f64 v[78:79], v[38:39], v[62:63]
	v_mul_f64 v[58:59], v[44:45], v[58:59]
	v_mul_f64 v[62:63], v[36:37], v[62:63]
	v_mul_f64 v[80:81], v[42:43], v[50:51]
	v_mul_f64 v[82:83], v[26:27], v[66:67]
	v_mul_f64 v[50:51], v[40:41], v[50:51]
	v_mul_f64 v[66:67], v[24:25], v[66:67]
	v_mul_f64 v[84:85], v[30:31], v[70:71]
	v_mul_f64 v[86:87], v[34:35], v[74:75]
	v_mul_f64 v[70:71], v[28:29], v[70:71]
	v_mul_f64 v[74:75], v[32:33], v[74:75]
	v_fma_f64 v[44:45], v[44:45], v[56:57], v[76:77]
	v_fma_f64 v[36:37], v[36:37], v[60:61], v[78:79]
	v_fma_f64 v[46:47], v[46:47], v[56:57], -v[58:59]
	v_fma_f64 v[38:39], v[38:39], v[60:61], -v[62:63]
	v_fma_f64 v[40:41], v[40:41], v[48:49], v[80:81]
	v_fma_f64 v[24:25], v[24:25], v[64:65], v[82:83]
	v_fma_f64 v[42:43], v[42:43], v[48:49], -v[50:51]
	v_fma_f64 v[26:27], v[26:27], v[64:65], -v[66:67]
	;; [unrolled: 4-line block ×3, first 2 shown]
	v_add_f64 v[64:65], v[20:21], v[44:45]
	v_add_f64 v[48:49], v[44:45], v[36:37]
	v_add_f64 v[44:45], v[44:45], -v[36:37]
	v_add_f64 v[50:51], v[46:47], v[38:39]
	v_add_f64 v[66:67], v[46:47], -v[38:39]
	v_add_f64 v[46:47], v[22:23], v[46:47]
	v_add_f64 v[68:69], v[12:13], v[40:41]
	;; [unrolled: 1-line block ×9, first 2 shown]
	v_add_f64 v[42:43], v[42:43], -v[26:27]
	v_fma_f64 v[48:49], v[48:49], -0.5, v[20:21]
	v_add_f64 v[40:41], v[40:41], -v[24:25]
	v_fma_f64 v[50:51], v[50:51], -0.5, v[22:23]
	v_add_f64 v[76:77], v[30:31], -v[34:35]
	v_add_f64 v[78:79], v[28:29], -v[32:33]
	v_fma_f64 v[56:57], v[56:57], -0.5, v[12:13]
	v_add_f64 v[12:13], v[64:65], v[36:37]
	v_fma_f64 v[58:59], v[58:59], -0.5, v[14:15]
	v_add_f64 v[14:15], v[46:47], v[38:39]
	;; [unrolled: 2-line block ×4, first 2 shown]
	v_add_f64 v[20:21], v[72:73], v[32:33]
	v_add_f64 v[22:23], v[74:75], v[34:35]
	v_fma_f64 v[24:25], v[66:67], s[4:5], v[48:49]
	v_fma_f64 v[26:27], v[44:45], s[6:7], v[50:51]
	;; [unrolled: 1-line block ×12, first 2 shown]
	ds_write_b128 v188, v[12:15]
	ds_write_b128 v188, v[16:19] offset:1872
	ds_write_b128 v188, v[20:23] offset:3744
	;; [unrolled: 1-line block ×8, first 2 shown]
	s_and_saveexec_b32 s1, s0
	s_cbranch_execz .LBB0_29
; %bb.28:
	v_subrev_nc_u32_e32 v12, 39, v52
	v_mov_b32_e32 v13, 0
	v_cndmask_b32_e64 v12, v12, v53, s0
	v_lshlrev_b32_e32 v12, 1, v12
	v_lshlrev_b64 v[12:13], 4, v[12:13]
	v_add_co_u32 v14, s0, s8, v12
	v_add_co_ci_u32_e64 v15, s0, s9, v13, s0
	v_add_co_u32 v12, s0, 0x1800, v14
	v_add_co_ci_u32_e64 v13, s0, 0, v15, s0
	;; [unrolled: 2-line block ×3, first 2 shown]
	s_clause 0x1
	global_load_dwordx4 v[12:15], v[12:13], off offset:64
	global_load_dwordx4 v[16:19], v[16:17], off offset:16
	s_waitcnt vmcnt(1)
	v_mul_f64 v[20:21], v[0:1], v[14:15]
	s_waitcnt vmcnt(0)
	v_mul_f64 v[22:23], v[8:9], v[18:19]
	v_mul_f64 v[14:15], v[2:3], v[14:15]
	;; [unrolled: 1-line block ×3, first 2 shown]
	v_fma_f64 v[2:3], v[2:3], v[12:13], -v[20:21]
	v_fma_f64 v[10:11], v[10:11], v[16:17], -v[22:23]
	v_fma_f64 v[0:1], v[0:1], v[12:13], v[14:15]
	v_fma_f64 v[8:9], v[8:9], v[16:17], v[18:19]
	v_add_f64 v[18:19], v[6:7], v[2:3]
	v_add_f64 v[12:13], v[2:3], v[10:11]
	v_add_f64 v[20:21], v[2:3], -v[10:11]
	v_add_f64 v[14:15], v[0:1], v[8:9]
	v_add_f64 v[16:17], v[0:1], -v[8:9]
	v_add_f64 v[0:1], v[4:5], v[0:1]
	v_add_f64 v[2:3], v[18:19], v[10:11]
	v_fma_f64 v[12:13], v[12:13], -0.5, v[6:7]
	v_fma_f64 v[4:5], v[14:15], -0.5, v[4:5]
	v_add_f64 v[0:1], v[0:1], v[8:9]
	v_fma_f64 v[10:11], v[16:17], s[6:7], v[12:13]
	v_fma_f64 v[6:7], v[16:17], s[4:5], v[12:13]
	v_fma_f64 v[8:9], v[20:21], s[4:5], v[4:5]
	v_fma_f64 v[4:5], v[20:21], s[6:7], v[4:5]
	ds_write_b128 v188, v[0:3] offset:5616
	ds_write_b128 v188, v[8:11] offset:11856
	;; [unrolled: 1-line block ×3, first 2 shown]
.LBB0_29:
	s_or_b32 exec_lo, exec_lo, s1
	s_waitcnt lgkmcnt(0)
	s_barrier
	buffer_gl0_inv
	s_and_saveexec_b32 s0, vcc_lo
	s_cbranch_execz .LBB0_31
; %bb.30:
	v_mov_b32_e32 v53, 0
	v_lshl_add_u32 v30, v52, 4, 0
	v_add_nc_u32_e32 v8, 0x75, v52
	v_add_co_u32 v31, vcc_lo, s2, v54
	v_mov_b32_e32 v9, v53
	v_lshlrev_b64 v[12:13], 4, v[52:53]
	ds_read_b128 v[0:3], v30
	ds_read_b128 v[4:7], v30 offset:1872
	v_add_co_ci_u32_e32 v32, vcc_lo, s3, v55, vcc_lo
	v_lshlrev_b64 v[14:15], 4, v[8:9]
	ds_read_b128 v[8:11], v30 offset:3744
	v_add_nc_u32_e32 v16, 0xea, v52
	v_mov_b32_e32 v17, v53
	v_add_co_u32 v20, vcc_lo, v31, v12
	v_add_co_ci_u32_e32 v21, vcc_lo, v32, v13, vcc_lo
	v_lshlrev_b64 v[12:13], 4, v[16:17]
	v_add_nc_u32_e32 v16, 0x15f, v52
	v_add_co_u32 v22, vcc_lo, v31, v14
	v_add_co_ci_u32_e32 v23, vcc_lo, v32, v15, vcc_lo
	v_lshlrev_b64 v[26:27], 4, v[16:17]
	ds_read_b128 v[16:19], v30 offset:7488
	v_add_co_u32 v24, vcc_lo, v31, v12
	v_add_nc_u32_e32 v28, 0x1d4, v52
	v_mov_b32_e32 v29, v53
	v_add_co_ci_u32_e32 v25, vcc_lo, v32, v13, vcc_lo
	ds_read_b128 v[12:15], v30 offset:5616
	s_waitcnt lgkmcnt(4)
	global_store_dwordx4 v[20:21], v[0:3], off
	s_waitcnt lgkmcnt(3)
	global_store_dwordx4 v[22:23], v[4:7], off
	s_waitcnt lgkmcnt(2)
	global_store_dwordx4 v[24:25], v[8:11], off
	v_lshlrev_b64 v[0:1], 4, v[28:29]
	v_add_co_u32 v2, vcc_lo, v31, v26
	v_add_co_ci_u32_e32 v3, vcc_lo, v32, v27, vcc_lo
	v_add_nc_u32_e32 v4, 0x249, v52
	v_mov_b32_e32 v5, v53
	v_add_co_u32 v6, vcc_lo, v31, v0
	v_add_co_ci_u32_e32 v7, vcc_lo, v32, v1, vcc_lo
	v_add_nc_u32_e32 v8, 0x2be, v52
	v_mov_b32_e32 v9, v53
	v_lshlrev_b64 v[4:5], 4, v[4:5]
	s_waitcnt lgkmcnt(1)
	global_store_dwordx4 v[6:7], v[16:19], off
	v_add_nc_u32_e32 v24, 0x3a8, v52
	v_mov_b32_e32 v25, v53
	v_lshlrev_b64 v[6:7], 4, v[8:9]
	s_waitcnt lgkmcnt(0)
	global_store_dwordx4 v[2:3], v[12:15], off
	v_add_co_u32 v20, vcc_lo, v31, v4
	v_add_nc_u32_e32 v12, 0x333, v52
	v_mov_b32_e32 v13, v53
	v_add_co_ci_u32_e32 v21, vcc_lo, v32, v5, vcc_lo
	v_add_co_u32 v22, vcc_lo, v31, v6
	ds_read_b128 v[0:3], v30 offset:9360
	v_add_co_ci_u32_e32 v23, vcc_lo, v32, v7, vcc_lo
	ds_read_b128 v[4:7], v30 offset:11232
	ds_read_b128 v[8:11], v30 offset:13104
	v_lshlrev_b64 v[26:27], 4, v[12:13]
	ds_read_b128 v[12:15], v30 offset:14976
	ds_read_b128 v[16:19], v30 offset:16848
	v_add_nc_u32_e32 v52, 0x41d, v52
	v_lshlrev_b64 v[24:25], 4, v[24:25]
	v_add_co_u32 v26, vcc_lo, v31, v26
	v_lshlrev_b64 v[28:29], 4, v[52:53]
	v_add_co_ci_u32_e32 v27, vcc_lo, v32, v27, vcc_lo
	v_add_co_u32 v24, vcc_lo, v31, v24
	v_add_co_ci_u32_e32 v25, vcc_lo, v32, v25, vcc_lo
	v_add_co_u32 v28, vcc_lo, v31, v28
	v_add_co_ci_u32_e32 v29, vcc_lo, v32, v29, vcc_lo
	s_waitcnt lgkmcnt(4)
	global_store_dwordx4 v[20:21], v[0:3], off
	s_waitcnt lgkmcnt(3)
	global_store_dwordx4 v[22:23], v[4:7], off
	;; [unrolled: 2-line block ×5, first 2 shown]
.LBB0_31:
	s_endpgm
	.section	.rodata,"a",@progbits
	.p2align	6, 0x0
	.amdhsa_kernel fft_rtc_back_len1170_factors_2_13_3_5_3_wgs_117_tpt_117_dp_ip_CI_unitstride_sbrr_C2R_dirReg
		.amdhsa_group_segment_fixed_size 0
		.amdhsa_private_segment_fixed_size 0
		.amdhsa_kernarg_size 88
		.amdhsa_user_sgpr_count 6
		.amdhsa_user_sgpr_private_segment_buffer 1
		.amdhsa_user_sgpr_dispatch_ptr 0
		.amdhsa_user_sgpr_queue_ptr 0
		.amdhsa_user_sgpr_kernarg_segment_ptr 1
		.amdhsa_user_sgpr_dispatch_id 0
		.amdhsa_user_sgpr_flat_scratch_init 0
		.amdhsa_user_sgpr_private_segment_size 0
		.amdhsa_wavefront_size32 1
		.amdhsa_uses_dynamic_stack 0
		.amdhsa_system_sgpr_private_segment_wavefront_offset 0
		.amdhsa_system_sgpr_workgroup_id_x 1
		.amdhsa_system_sgpr_workgroup_id_y 0
		.amdhsa_system_sgpr_workgroup_id_z 0
		.amdhsa_system_sgpr_workgroup_info 0
		.amdhsa_system_vgpr_workitem_id 0
		.amdhsa_next_free_vgpr 236
		.amdhsa_next_free_sgpr 42
		.amdhsa_reserve_vcc 1
		.amdhsa_reserve_flat_scratch 0
		.amdhsa_float_round_mode_32 0
		.amdhsa_float_round_mode_16_64 0
		.amdhsa_float_denorm_mode_32 3
		.amdhsa_float_denorm_mode_16_64 3
		.amdhsa_dx10_clamp 1
		.amdhsa_ieee_mode 1
		.amdhsa_fp16_overflow 0
		.amdhsa_workgroup_processor_mode 1
		.amdhsa_memory_ordered 1
		.amdhsa_forward_progress 0
		.amdhsa_shared_vgpr_count 0
		.amdhsa_exception_fp_ieee_invalid_op 0
		.amdhsa_exception_fp_denorm_src 0
		.amdhsa_exception_fp_ieee_div_zero 0
		.amdhsa_exception_fp_ieee_overflow 0
		.amdhsa_exception_fp_ieee_underflow 0
		.amdhsa_exception_fp_ieee_inexact 0
		.amdhsa_exception_int_div_zero 0
	.end_amdhsa_kernel
	.text
.Lfunc_end0:
	.size	fft_rtc_back_len1170_factors_2_13_3_5_3_wgs_117_tpt_117_dp_ip_CI_unitstride_sbrr_C2R_dirReg, .Lfunc_end0-fft_rtc_back_len1170_factors_2_13_3_5_3_wgs_117_tpt_117_dp_ip_CI_unitstride_sbrr_C2R_dirReg
                                        ; -- End function
	.section	.AMDGPU.csdata,"",@progbits
; Kernel info:
; codeLenInByte = 12656
; NumSgprs: 44
; NumVgprs: 236
; ScratchSize: 0
; MemoryBound: 0
; FloatMode: 240
; IeeeMode: 1
; LDSByteSize: 0 bytes/workgroup (compile time only)
; SGPRBlocks: 5
; VGPRBlocks: 29
; NumSGPRsForWavesPerEU: 44
; NumVGPRsForWavesPerEU: 236
; Occupancy: 4
; WaveLimiterHint : 1
; COMPUTE_PGM_RSRC2:SCRATCH_EN: 0
; COMPUTE_PGM_RSRC2:USER_SGPR: 6
; COMPUTE_PGM_RSRC2:TRAP_HANDLER: 0
; COMPUTE_PGM_RSRC2:TGID_X_EN: 1
; COMPUTE_PGM_RSRC2:TGID_Y_EN: 0
; COMPUTE_PGM_RSRC2:TGID_Z_EN: 0
; COMPUTE_PGM_RSRC2:TIDIG_COMP_CNT: 0
	.text
	.p2alignl 6, 3214868480
	.fill 48, 4, 3214868480
	.type	__hip_cuid_4e47abfd6b75f994,@object ; @__hip_cuid_4e47abfd6b75f994
	.section	.bss,"aw",@nobits
	.globl	__hip_cuid_4e47abfd6b75f994
__hip_cuid_4e47abfd6b75f994:
	.byte	0                               ; 0x0
	.size	__hip_cuid_4e47abfd6b75f994, 1

	.ident	"AMD clang version 19.0.0git (https://github.com/RadeonOpenCompute/llvm-project roc-6.4.0 25133 c7fe45cf4b819c5991fe208aaa96edf142730f1d)"
	.section	".note.GNU-stack","",@progbits
	.addrsig
	.addrsig_sym __hip_cuid_4e47abfd6b75f994
	.amdgpu_metadata
---
amdhsa.kernels:
  - .args:
      - .actual_access:  read_only
        .address_space:  global
        .offset:         0
        .size:           8
        .value_kind:     global_buffer
      - .offset:         8
        .size:           8
        .value_kind:     by_value
      - .actual_access:  read_only
        .address_space:  global
        .offset:         16
        .size:           8
        .value_kind:     global_buffer
      - .actual_access:  read_only
        .address_space:  global
        .offset:         24
        .size:           8
        .value_kind:     global_buffer
      - .offset:         32
        .size:           8
        .value_kind:     by_value
      - .actual_access:  read_only
        .address_space:  global
        .offset:         40
        .size:           8
        .value_kind:     global_buffer
      - .actual_access:  read_only
        .address_space:  global
        .offset:         48
        .size:           8
        .value_kind:     global_buffer
      - .offset:         56
        .size:           4
        .value_kind:     by_value
      - .actual_access:  read_only
        .address_space:  global
        .offset:         64
        .size:           8
        .value_kind:     global_buffer
      - .actual_access:  read_only
        .address_space:  global
        .offset:         72
        .size:           8
        .value_kind:     global_buffer
      - .address_space:  global
        .offset:         80
        .size:           8
        .value_kind:     global_buffer
    .group_segment_fixed_size: 0
    .kernarg_segment_align: 8
    .kernarg_segment_size: 88
    .language:       OpenCL C
    .language_version:
      - 2
      - 0
    .max_flat_workgroup_size: 117
    .name:           fft_rtc_back_len1170_factors_2_13_3_5_3_wgs_117_tpt_117_dp_ip_CI_unitstride_sbrr_C2R_dirReg
    .private_segment_fixed_size: 0
    .sgpr_count:     44
    .sgpr_spill_count: 0
    .symbol:         fft_rtc_back_len1170_factors_2_13_3_5_3_wgs_117_tpt_117_dp_ip_CI_unitstride_sbrr_C2R_dirReg.kd
    .uniform_work_group_size: 1
    .uses_dynamic_stack: false
    .vgpr_count:     236
    .vgpr_spill_count: 0
    .wavefront_size: 32
    .workgroup_processor_mode: 1
amdhsa.target:   amdgcn-amd-amdhsa--gfx1030
amdhsa.version:
  - 1
  - 2
...

	.end_amdgpu_metadata
